;; amdgpu-corpus repo=ROCm/rocFFT kind=compiled arch=gfx1100 opt=O3
	.text
	.amdgcn_target "amdgcn-amd-amdhsa--gfx1100"
	.amdhsa_code_object_version 6
	.protected	fft_rtc_fwd_len52_factors_13_4_wgs_64_tpt_4_halfLds_dp_ip_CI_unitstride_sbrr_dirReg ; -- Begin function fft_rtc_fwd_len52_factors_13_4_wgs_64_tpt_4_halfLds_dp_ip_CI_unitstride_sbrr_dirReg
	.globl	fft_rtc_fwd_len52_factors_13_4_wgs_64_tpt_4_halfLds_dp_ip_CI_unitstride_sbrr_dirReg
	.p2align	8
	.type	fft_rtc_fwd_len52_factors_13_4_wgs_64_tpt_4_halfLds_dp_ip_CI_unitstride_sbrr_dirReg,@function
fft_rtc_fwd_len52_factors_13_4_wgs_64_tpt_4_halfLds_dp_ip_CI_unitstride_sbrr_dirReg: ; @fft_rtc_fwd_len52_factors_13_4_wgs_64_tpt_4_halfLds_dp_ip_CI_unitstride_sbrr_dirReg
; %bb.0:
	s_clause 0x2
	s_load_b128 s[4:7], s[0:1], 0x0
	s_load_b64 s[8:9], s[0:1], 0x50
	s_load_b64 s[10:11], s[0:1], 0x18
	v_lshrrev_b32_e32 v50, 2, v0
	v_mov_b32_e32 v1, 0
	v_mov_b32_e32 v3, 0
	;; [unrolled: 1-line block ×3, first 2 shown]
	s_delay_alu instid0(VALU_DEP_4) | instskip(NEXT) | instid1(VALU_DEP_4)
	v_lshl_or_b32 v5, s15, 4, v50
	v_mov_b32_e32 v6, v1
	s_waitcnt lgkmcnt(0)
	v_cmp_lt_u64_e64 s2, s[6:7], 2
	s_delay_alu instid0(VALU_DEP_1)
	s_and_b32 vcc_lo, exec_lo, s2
	s_cbranch_vccnz .LBB0_8
; %bb.1:
	s_load_b64 s[2:3], s[0:1], 0x10
	v_mov_b32_e32 v3, 0
	s_add_u32 s12, s10, 8
	v_mov_b32_e32 v4, 0
	s_addc_u32 s13, s11, 0
	s_mov_b64 s[16:17], 1
	s_waitcnt lgkmcnt(0)
	s_add_u32 s14, s2, 8
	s_addc_u32 s15, s3, 0
.LBB0_2:                                ; =>This Inner Loop Header: Depth=1
	s_load_b64 s[18:19], s[14:15], 0x0
                                        ; implicit-def: $vgpr7_vgpr8
	s_mov_b32 s2, exec_lo
	s_waitcnt lgkmcnt(0)
	v_or_b32_e32 v2, s19, v6
	s_delay_alu instid0(VALU_DEP_1)
	v_cmpx_ne_u64_e32 0, v[1:2]
	s_xor_b32 s3, exec_lo, s2
	s_cbranch_execz .LBB0_4
; %bb.3:                                ;   in Loop: Header=BB0_2 Depth=1
	v_cvt_f32_u32_e32 v2, s18
	v_cvt_f32_u32_e32 v7, s19
	s_sub_u32 s2, 0, s18
	s_subb_u32 s20, 0, s19
	s_delay_alu instid0(VALU_DEP_1) | instskip(NEXT) | instid1(VALU_DEP_1)
	v_fmac_f32_e32 v2, 0x4f800000, v7
	v_rcp_f32_e32 v2, v2
	s_waitcnt_depctr 0xfff
	v_mul_f32_e32 v2, 0x5f7ffffc, v2
	s_delay_alu instid0(VALU_DEP_1) | instskip(NEXT) | instid1(VALU_DEP_1)
	v_mul_f32_e32 v7, 0x2f800000, v2
	v_trunc_f32_e32 v7, v7
	s_delay_alu instid0(VALU_DEP_1) | instskip(SKIP_1) | instid1(VALU_DEP_2)
	v_fmac_f32_e32 v2, 0xcf800000, v7
	v_cvt_u32_f32_e32 v7, v7
	v_cvt_u32_f32_e32 v2, v2
	s_delay_alu instid0(VALU_DEP_2) | instskip(NEXT) | instid1(VALU_DEP_2)
	v_mul_lo_u32 v8, s2, v7
	v_mul_hi_u32 v9, s2, v2
	v_mul_lo_u32 v10, s20, v2
	s_delay_alu instid0(VALU_DEP_2) | instskip(SKIP_1) | instid1(VALU_DEP_2)
	v_add_nc_u32_e32 v8, v9, v8
	v_mul_lo_u32 v9, s2, v2
	v_add_nc_u32_e32 v8, v8, v10
	s_delay_alu instid0(VALU_DEP_2) | instskip(NEXT) | instid1(VALU_DEP_2)
	v_mul_hi_u32 v10, v2, v9
	v_mul_lo_u32 v11, v2, v8
	v_mul_hi_u32 v12, v2, v8
	v_mul_hi_u32 v13, v7, v9
	v_mul_lo_u32 v9, v7, v9
	v_mul_hi_u32 v14, v7, v8
	v_mul_lo_u32 v8, v7, v8
	v_add_co_u32 v10, vcc_lo, v10, v11
	v_add_co_ci_u32_e32 v11, vcc_lo, 0, v12, vcc_lo
	s_delay_alu instid0(VALU_DEP_2) | instskip(NEXT) | instid1(VALU_DEP_2)
	v_add_co_u32 v9, vcc_lo, v10, v9
	v_add_co_ci_u32_e32 v9, vcc_lo, v11, v13, vcc_lo
	v_add_co_ci_u32_e32 v10, vcc_lo, 0, v14, vcc_lo
	s_delay_alu instid0(VALU_DEP_2) | instskip(NEXT) | instid1(VALU_DEP_2)
	v_add_co_u32 v8, vcc_lo, v9, v8
	v_add_co_ci_u32_e32 v9, vcc_lo, 0, v10, vcc_lo
	s_delay_alu instid0(VALU_DEP_2) | instskip(NEXT) | instid1(VALU_DEP_2)
	v_add_co_u32 v2, vcc_lo, v2, v8
	v_add_co_ci_u32_e32 v7, vcc_lo, v7, v9, vcc_lo
	s_delay_alu instid0(VALU_DEP_2) | instskip(SKIP_1) | instid1(VALU_DEP_3)
	v_mul_hi_u32 v8, s2, v2
	v_mul_lo_u32 v10, s20, v2
	v_mul_lo_u32 v9, s2, v7
	s_delay_alu instid0(VALU_DEP_1) | instskip(SKIP_1) | instid1(VALU_DEP_2)
	v_add_nc_u32_e32 v8, v8, v9
	v_mul_lo_u32 v9, s2, v2
	v_add_nc_u32_e32 v8, v8, v10
	s_delay_alu instid0(VALU_DEP_2) | instskip(NEXT) | instid1(VALU_DEP_2)
	v_mul_hi_u32 v10, v2, v9
	v_mul_lo_u32 v11, v2, v8
	v_mul_hi_u32 v12, v2, v8
	v_mul_hi_u32 v13, v7, v9
	v_mul_lo_u32 v9, v7, v9
	v_mul_hi_u32 v14, v7, v8
	v_mul_lo_u32 v8, v7, v8
	v_add_co_u32 v10, vcc_lo, v10, v11
	v_add_co_ci_u32_e32 v11, vcc_lo, 0, v12, vcc_lo
	s_delay_alu instid0(VALU_DEP_2) | instskip(NEXT) | instid1(VALU_DEP_2)
	v_add_co_u32 v9, vcc_lo, v10, v9
	v_add_co_ci_u32_e32 v9, vcc_lo, v11, v13, vcc_lo
	v_add_co_ci_u32_e32 v10, vcc_lo, 0, v14, vcc_lo
	s_delay_alu instid0(VALU_DEP_2) | instskip(NEXT) | instid1(VALU_DEP_2)
	v_add_co_u32 v8, vcc_lo, v9, v8
	v_add_co_ci_u32_e32 v9, vcc_lo, 0, v10, vcc_lo
	s_delay_alu instid0(VALU_DEP_2) | instskip(NEXT) | instid1(VALU_DEP_2)
	v_add_co_u32 v2, vcc_lo, v2, v8
	v_add_co_ci_u32_e32 v13, vcc_lo, v7, v9, vcc_lo
	s_delay_alu instid0(VALU_DEP_2) | instskip(SKIP_1) | instid1(VALU_DEP_3)
	v_mul_hi_u32 v14, v5, v2
	v_mad_u64_u32 v[9:10], null, v6, v2, 0
	v_mad_u64_u32 v[7:8], null, v5, v13, 0
	;; [unrolled: 1-line block ×3, first 2 shown]
	s_delay_alu instid0(VALU_DEP_2) | instskip(NEXT) | instid1(VALU_DEP_3)
	v_add_co_u32 v2, vcc_lo, v14, v7
	v_add_co_ci_u32_e32 v7, vcc_lo, 0, v8, vcc_lo
	s_delay_alu instid0(VALU_DEP_2) | instskip(NEXT) | instid1(VALU_DEP_2)
	v_add_co_u32 v2, vcc_lo, v2, v9
	v_add_co_ci_u32_e32 v2, vcc_lo, v7, v10, vcc_lo
	v_add_co_ci_u32_e32 v7, vcc_lo, 0, v12, vcc_lo
	s_delay_alu instid0(VALU_DEP_2) | instskip(NEXT) | instid1(VALU_DEP_2)
	v_add_co_u32 v2, vcc_lo, v2, v11
	v_add_co_ci_u32_e32 v9, vcc_lo, 0, v7, vcc_lo
	s_delay_alu instid0(VALU_DEP_2) | instskip(SKIP_1) | instid1(VALU_DEP_3)
	v_mul_lo_u32 v10, s19, v2
	v_mad_u64_u32 v[7:8], null, s18, v2, 0
	v_mul_lo_u32 v11, s18, v9
	s_delay_alu instid0(VALU_DEP_2) | instskip(NEXT) | instid1(VALU_DEP_2)
	v_sub_co_u32 v7, vcc_lo, v5, v7
	v_add3_u32 v8, v8, v11, v10
	s_delay_alu instid0(VALU_DEP_1) | instskip(NEXT) | instid1(VALU_DEP_1)
	v_sub_nc_u32_e32 v10, v6, v8
	v_subrev_co_ci_u32_e64 v10, s2, s19, v10, vcc_lo
	v_add_co_u32 v11, s2, v2, 2
	s_delay_alu instid0(VALU_DEP_1) | instskip(SKIP_3) | instid1(VALU_DEP_3)
	v_add_co_ci_u32_e64 v12, s2, 0, v9, s2
	v_sub_co_u32 v13, s2, v7, s18
	v_sub_co_ci_u32_e32 v8, vcc_lo, v6, v8, vcc_lo
	v_subrev_co_ci_u32_e64 v10, s2, 0, v10, s2
	v_cmp_le_u32_e32 vcc_lo, s18, v13
	s_delay_alu instid0(VALU_DEP_3) | instskip(SKIP_1) | instid1(VALU_DEP_4)
	v_cmp_eq_u32_e64 s2, s19, v8
	v_cndmask_b32_e64 v13, 0, -1, vcc_lo
	v_cmp_le_u32_e32 vcc_lo, s19, v10
	v_cndmask_b32_e64 v14, 0, -1, vcc_lo
	v_cmp_le_u32_e32 vcc_lo, s18, v7
	;; [unrolled: 2-line block ×3, first 2 shown]
	v_cndmask_b32_e64 v15, 0, -1, vcc_lo
	v_cmp_eq_u32_e32 vcc_lo, s19, v10
	s_delay_alu instid0(VALU_DEP_2) | instskip(SKIP_3) | instid1(VALU_DEP_3)
	v_cndmask_b32_e64 v7, v15, v7, s2
	v_cndmask_b32_e32 v10, v14, v13, vcc_lo
	v_add_co_u32 v13, vcc_lo, v2, 1
	v_add_co_ci_u32_e32 v14, vcc_lo, 0, v9, vcc_lo
	v_cmp_ne_u32_e32 vcc_lo, 0, v10
	s_delay_alu instid0(VALU_DEP_2) | instskip(NEXT) | instid1(VALU_DEP_4)
	v_cndmask_b32_e32 v8, v14, v12, vcc_lo
	v_cndmask_b32_e32 v10, v13, v11, vcc_lo
	v_cmp_ne_u32_e32 vcc_lo, 0, v7
	s_delay_alu instid0(VALU_DEP_2)
	v_dual_cndmask_b32 v7, v2, v10 :: v_dual_cndmask_b32 v8, v9, v8
.LBB0_4:                                ;   in Loop: Header=BB0_2 Depth=1
	s_and_not1_saveexec_b32 s2, s3
	s_cbranch_execz .LBB0_6
; %bb.5:                                ;   in Loop: Header=BB0_2 Depth=1
	v_cvt_f32_u32_e32 v2, s18
	s_sub_i32 s3, 0, s18
	s_delay_alu instid0(VALU_DEP_1) | instskip(SKIP_2) | instid1(VALU_DEP_1)
	v_rcp_iflag_f32_e32 v2, v2
	s_waitcnt_depctr 0xfff
	v_mul_f32_e32 v2, 0x4f7ffffe, v2
	v_cvt_u32_f32_e32 v2, v2
	s_delay_alu instid0(VALU_DEP_1) | instskip(NEXT) | instid1(VALU_DEP_1)
	v_mul_lo_u32 v7, s3, v2
	v_mul_hi_u32 v7, v2, v7
	s_delay_alu instid0(VALU_DEP_1) | instskip(NEXT) | instid1(VALU_DEP_1)
	v_add_nc_u32_e32 v2, v2, v7
	v_mul_hi_u32 v2, v5, v2
	s_delay_alu instid0(VALU_DEP_1) | instskip(SKIP_1) | instid1(VALU_DEP_2)
	v_mul_lo_u32 v7, v2, s18
	v_add_nc_u32_e32 v8, 1, v2
	v_sub_nc_u32_e32 v7, v5, v7
	s_delay_alu instid0(VALU_DEP_1) | instskip(SKIP_1) | instid1(VALU_DEP_2)
	v_subrev_nc_u32_e32 v9, s18, v7
	v_cmp_le_u32_e32 vcc_lo, s18, v7
	v_dual_cndmask_b32 v7, v7, v9 :: v_dual_cndmask_b32 v2, v2, v8
	s_delay_alu instid0(VALU_DEP_1) | instskip(NEXT) | instid1(VALU_DEP_2)
	v_cmp_le_u32_e32 vcc_lo, s18, v7
	v_add_nc_u32_e32 v8, 1, v2
	s_delay_alu instid0(VALU_DEP_1)
	v_dual_cndmask_b32 v7, v2, v8 :: v_dual_mov_b32 v8, v1
.LBB0_6:                                ;   in Loop: Header=BB0_2 Depth=1
	s_or_b32 exec_lo, exec_lo, s2
	s_load_b64 s[2:3], s[12:13], 0x0
	s_delay_alu instid0(VALU_DEP_1) | instskip(NEXT) | instid1(VALU_DEP_2)
	v_mul_lo_u32 v2, v8, s18
	v_mul_lo_u32 v11, v7, s19
	v_mad_u64_u32 v[9:10], null, v7, s18, 0
	s_add_u32 s16, s16, 1
	s_addc_u32 s17, s17, 0
	s_add_u32 s12, s12, 8
	s_addc_u32 s13, s13, 0
	;; [unrolled: 2-line block ×3, first 2 shown]
	s_delay_alu instid0(VALU_DEP_1) | instskip(SKIP_1) | instid1(VALU_DEP_2)
	v_add3_u32 v2, v10, v11, v2
	v_sub_co_u32 v9, vcc_lo, v5, v9
	v_sub_co_ci_u32_e32 v2, vcc_lo, v6, v2, vcc_lo
	s_waitcnt lgkmcnt(0)
	s_delay_alu instid0(VALU_DEP_2) | instskip(NEXT) | instid1(VALU_DEP_2)
	v_mul_lo_u32 v10, s3, v9
	v_mul_lo_u32 v2, s2, v2
	v_mad_u64_u32 v[5:6], null, s2, v9, v[3:4]
	v_cmp_ge_u64_e64 s2, s[16:17], s[6:7]
	s_delay_alu instid0(VALU_DEP_1) | instskip(NEXT) | instid1(VALU_DEP_2)
	s_and_b32 vcc_lo, exec_lo, s2
	v_add3_u32 v4, v10, v6, v2
	s_delay_alu instid0(VALU_DEP_3)
	v_mov_b32_e32 v3, v5
	s_cbranch_vccnz .LBB0_9
; %bb.7:                                ;   in Loop: Header=BB0_2 Depth=1
	v_dual_mov_b32 v5, v7 :: v_dual_mov_b32 v6, v8
	s_branch .LBB0_2
.LBB0_8:
	v_dual_mov_b32 v8, v6 :: v_dual_mov_b32 v7, v5
.LBB0_9:
	s_lshl_b64 s[2:3], s[6:7], 3
	v_and_b32_e32 v86, 3, v0
	s_add_u32 s2, s10, s2
	s_addc_u32 s3, s11, s3
	s_load_b64 s[2:3], s[2:3], 0x0
	s_load_b64 s[0:1], s[0:1], 0x20
	v_or_b32_e32 v85, 4, v86
	v_or_b32_e32 v87, 8, v86
	s_waitcnt lgkmcnt(0)
	v_mul_lo_u32 v5, s2, v8
	v_mul_lo_u32 v6, s3, v7
	v_mad_u64_u32 v[1:2], null, s2, v7, v[3:4]
	v_cmp_gt_u64_e32 vcc_lo, s[0:1], v[7:8]
	v_cmp_le_u64_e64 s0, s[0:1], v[7:8]
	s_delay_alu instid0(VALU_DEP_3) | instskip(NEXT) | instid1(VALU_DEP_2)
	v_add3_u32 v2, v6, v2, v5
	s_and_saveexec_b32 s1, s0
	s_delay_alu instid0(SALU_CYCLE_1)
	s_xor_b32 s0, exec_lo, s1
; %bb.10:
	v_or_b32_e32 v85, 4, v86
	v_or_b32_e32 v87, 8, v86
; %bb.11:
	s_or_saveexec_b32 s1, s0
	v_lshlrev_b64 v[76:77], 4, v[1:2]
	v_lshlrev_b32_e32 v84, 4, v86
                                        ; implicit-def: $vgpr54_vgpr55
                                        ; implicit-def: $vgpr42_vgpr43
                                        ; implicit-def: $vgpr26_vgpr27
                                        ; implicit-def: $vgpr14_vgpr15
                                        ; implicit-def: $vgpr22_vgpr23
                                        ; implicit-def: $vgpr10_vgpr11
                                        ; implicit-def: $vgpr2_vgpr3
                                        ; implicit-def: $vgpr6_vgpr7
                                        ; implicit-def: $vgpr34_vgpr35
                                        ; implicit-def: $vgpr18_vgpr19
                                        ; implicit-def: $vgpr38_vgpr39
                                        ; implicit-def: $vgpr46_vgpr47
                                        ; implicit-def: $vgpr30_vgpr31
	s_xor_b32 exec_lo, exec_lo, s1
; %bb.12:
	s_delay_alu instid0(VALU_DEP_2) | instskip(NEXT) | instid1(VALU_DEP_1)
	v_add_co_u32 v0, s0, s8, v76
	v_add_co_ci_u32_e64 v1, s0, s9, v77, s0
	s_delay_alu instid0(VALU_DEP_2) | instskip(NEXT) | instid1(VALU_DEP_1)
	v_add_co_u32 v0, s0, v0, v84
	v_add_co_ci_u32_e64 v1, s0, 0, v1, s0
	s_clause 0xc
	global_load_b128 v[28:31], v[0:1], off
	global_load_b128 v[52:55], v[0:1], off offset:64
	global_load_b128 v[40:43], v[0:1], off offset:128
	;; [unrolled: 1-line block ×12, first 2 shown]
; %bb.13:
	s_or_b32 exec_lo, exec_lo, s1
	s_waitcnt vmcnt(11)
	v_add_f64 v[48:49], v[52:53], v[28:29]
	s_waitcnt vmcnt(0)
	v_add_f64 v[56:57], v[52:53], v[0:1]
	s_mov_b32 s12, 0xe00740e9
	s_mov_b32 s6, 0x1ea71119
	;; [unrolled: 1-line block ×10, first 2 shown]
	v_add_f64 v[58:59], v[54:55], -v[2:3]
	v_add_f64 v[60:61], v[40:41], v[4:5]
	s_mov_b32 s2, 0xebaa3ed8
	s_mov_b32 s3, 0x3fbedb7d
	;; [unrolled: 1-line block ×20, first 2 shown]
	v_add_f64 v[72:73], v[8:9], v[44:45]
	s_mov_b32 s27, 0xbfe5384d
	v_add_f64 v[74:75], v[42:43], -v[6:7]
	s_mov_b32 s42, s24
	v_add_f64 v[48:49], v[40:41], v[48:49]
	v_mul_f64 v[62:63], v[56:57], s[12:13]
	v_mul_f64 v[64:65], v[56:57], s[6:7]
	;; [unrolled: 1-line block ×6, first 2 shown]
	s_mov_b32 s26, s38
	s_mov_b32 s19, 0x3fefc445
	;; [unrolled: 1-line block ×4, first 2 shown]
	v_add_f64 v[104:105], v[20:21], v[36:37]
	v_mul_u32_u24_e32 v50, 52, v50
	v_mul_f64 v[78:79], v[60:61], s[6:7]
	v_mul_f64 v[80:81], v[60:61], s[10:11]
	;; [unrolled: 1-line block ×6, first 2 shown]
	v_cmp_eq_u32_e64 s0, 0, v86
	v_mul_f64 v[106:107], v[72:73], s[2:3]
	v_mul_f64 v[108:109], v[72:73], s[16:17]
	;; [unrolled: 1-line block ×4, first 2 shown]
	v_add_f64 v[48:49], v[44:45], v[48:49]
	v_fma_f64 v[92:93], v[58:59], s[24:25], v[62:63]
	v_fma_f64 v[94:95], v[58:59], s[30:31], v[64:65]
	v_fma_f64 v[96:97], v[58:59], s[40:41], v[66:67]
	v_fma_f64 v[66:67], v[58:59], s[20:21], v[66:67]
	v_fma_f64 v[98:99], v[58:59], s[38:39], v[68:69]
	v_fma_f64 v[100:101], v[58:59], s[34:35], v[70:71]
	v_fma_f64 v[70:71], v[58:59], s[28:29], v[70:71]
	v_fma_f64 v[62:63], v[58:59], s[42:43], v[62:63]
	v_fma_f64 v[68:69], v[58:59], s[26:27], v[68:69]
	v_fma_f64 v[102:103], v[58:59], s[36:37], v[56:57]
	v_fma_f64 v[64:65], v[58:59], s[22:23], v[64:65]
	v_fma_f64 v[56:57], v[58:59], s[18:19], v[56:57]
	v_add_f64 v[58:59], v[46:47], -v[10:11]
	v_mul_f64 v[114:115], v[72:73], s[6:7]
	v_mul_f64 v[72:73], v[72:73], s[14:15]
	v_fma_f64 v[116:117], v[74:75], s[22:23], v[78:79]
	v_fma_f64 v[78:79], v[74:75], s[30:31], v[78:79]
	;; [unrolled: 1-line block ×12, first 2 shown]
	v_mul_f64 v[128:129], v[104:105], s[10:11]
	v_mul_f64 v[130:131], v[104:105], s[14:15]
	;; [unrolled: 1-line block ×6, first 2 shown]
	v_add_f64 v[48:49], v[36:37], v[48:49]
	v_add_f64 v[74:75], v[92:93], v[28:29]
	v_add_f64 v[92:93], v[94:95], v[28:29]
	v_add_f64 v[94:95], v[96:97], v[28:29]
	v_add_f64 v[66:67], v[66:67], v[28:29]
	v_add_f64 v[96:97], v[98:99], v[28:29]
	v_add_f64 v[98:99], v[100:101], v[28:29]
	v_add_f64 v[70:71], v[70:71], v[28:29]
	v_add_f64 v[62:63], v[62:63], v[28:29]
	v_add_f64 v[68:69], v[68:69], v[28:29]
	v_add_f64 v[100:101], v[102:103], v[28:29]
	v_add_f64 v[64:65], v[64:65], v[28:29]
	v_add_f64 v[28:29], v[56:57], v[28:29]
	v_add_f64 v[56:57], v[38:39], -v[22:23]
	v_add_f64 v[102:103], v[24:25], v[32:33]
	v_fma_f64 v[138:139], v[58:59], s[18:19], v[106:107]
	v_fma_f64 v[106:107], v[58:59], s[36:37], v[106:107]
	;; [unrolled: 1-line block ×12, first 2 shown]
	v_add_f64 v[48:49], v[24:25], v[48:49]
	v_add_f64 v[72:73], v[116:117], v[74:75]
	;; [unrolled: 1-line block ×13, first 2 shown]
	v_add_f64 v[78:79], v[26:27], -v[34:35]
	v_add_f64 v[82:83], v[12:13], v[16:17]
	v_mul_f64 v[90:91], v[102:103], s[14:15]
	v_mul_f64 v[94:95], v[102:103], s[2:3]
	;; [unrolled: 1-line block ×4, first 2 shown]
	v_fma_f64 v[116:117], v[56:57], s[40:41], v[128:129]
	v_fma_f64 v[118:119], v[56:57], s[20:21], v[128:129]
	v_fma_f64 v[120:121], v[56:57], s[26:27], v[130:131]
	v_fma_f64 v[122:123], v[56:57], s[38:39], v[130:131]
	v_fma_f64 v[128:129], v[56:57], s[18:19], v[134:135]
	v_fma_f64 v[130:131], v[56:57], s[36:37], v[134:135]
	v_fma_f64 v[134:135], v[56:57], s[28:29], v[136:137]
	v_mul_f64 v[96:97], v[102:103], s[6:7]
	v_mul_f64 v[102:103], v[102:103], s[10:11]
	v_fma_f64 v[124:125], v[56:57], s[42:43], v[132:133]
	v_fma_f64 v[126:127], v[56:57], s[24:25], v[132:133]
	;; [unrolled: 1-line block ×5, first 2 shown]
	v_add_f64 v[48:49], v[12:13], v[48:49]
	v_add_f64 v[72:73], v[138:139], v[72:73]
	;; [unrolled: 1-line block ×13, first 2 shown]
	v_add_f64 v[70:71], v[14:15], -v[18:19]
	v_mul_f64 v[106:107], v[82:83], s[16:17]
	v_mul_f64 v[108:109], v[82:83], s[12:13]
	;; [unrolled: 1-line block ×4, first 2 shown]
	v_fma_f64 v[136:137], v[78:79], s[38:39], v[90:91]
	v_fma_f64 v[138:139], v[78:79], s[36:37], v[94:95]
	;; [unrolled: 1-line block ×5, first 2 shown]
	v_mul_f64 v[110:111], v[82:83], s[14:15]
	v_mul_f64 v[82:83], v[82:83], s[2:3]
	v_fma_f64 v[90:91], v[78:79], s[26:27], v[90:91]
	v_fma_f64 v[140:141], v[78:79], s[22:23], v[96:97]
	v_fma_f64 v[144:145], v[78:79], s[40:41], v[102:103]
	v_fma_f64 v[102:103], v[78:79], s[20:21], v[102:103]
	v_fma_f64 v[96:97], v[78:79], s[30:31], v[96:97]
	v_fma_f64 v[98:99], v[78:79], s[34:35], v[98:99]
	v_fma_f64 v[78:79], v[78:79], s[24:25], v[100:101]
	v_add_f64 v[48:49], v[16:17], v[48:49]
	v_add_f64 v[72:73], v[116:117], v[72:73]
	v_add_f64 v[74:75], v[122:123], v[74:75]
	v_add_f64 v[80:81], v[128:129], v[80:81]
	v_add_f64 v[66:67], v[130:131], v[66:67]
	v_add_f64 v[88:89], v[134:135], v[88:89]
	v_add_f64 v[92:93], v[132:133], v[92:93]
	v_add_f64 v[58:59], v[104:105], v[58:59]
	v_add_f64 v[60:61], v[118:119], v[60:61]
	v_add_f64 v[56:57], v[56:57], v[62:63]
	v_add_f64 v[62:63], v[126:127], v[68:69]
	v_add_f64 v[64:65], v[120:121], v[64:65]
	v_add_f64 v[28:29], v[124:125], v[28:29]
	v_fma_f64 v[68:69], v[70:71], s[34:35], v[106:107]
	v_fma_f64 v[100:101], v[70:71], s[28:29], v[106:107]
	;; [unrolled: 1-line block ×12, first 2 shown]
	v_add_f64 v[48:49], v[32:33], v[48:49]
	v_add_f64 v[72:73], v[136:137], v[72:73]
	;; [unrolled: 1-line block ×21, first 2 shown]
	v_lshl_add_u32 v88, v50, 3, 0
	v_add_f64 v[56:57], v[70:71], v[56:57]
	v_add_f64 v[28:29], v[108:109], v[28:29]
	s_delay_alu instid0(VALU_DEP_3) | instskip(SKIP_3) | instid1(VALU_DEP_4)
	v_mad_u32_u24 v89, 0x68, v86, v88
	v_lshl_add_u32 v91, v86, 3, v88
	v_lshl_add_u32 v90, v85, 3, v88
	;; [unrolled: 1-line block ×3, first 2 shown]
	v_mad_i32_i24 v92, 0xffffffa0, v86, v89
	v_add_f64 v[48:49], v[8:9], v[48:49]
	s_delay_alu instid0(VALU_DEP_1) | instskip(SKIP_3) | instid1(VALU_DEP_4)
	v_add_f64 v[78:79], v[4:5], v[48:49]
	v_add_f64 v[48:49], v[100:101], v[60:61]
	;; [unrolled: 1-line block ×5, first 2 shown]
	ds_store_2addr_b64 v89, v[74:75], v[80:81] offset0:4 offset1:5
	ds_store_2addr_b64 v89, v[94:95], v[58:59] offset0:6 offset1:7
	;; [unrolled: 1-line block ×4, first 2 shown]
	ds_store_b64 v89, v[48:49] offset:96
	ds_store_2addr_b64 v89, v[64:65], v[68:69] offset1:1
	ds_store_2addr_b64 v89, v[62:63], v[28:29] offset0:2 offset1:3
	s_waitcnt lgkmcnt(0)
	s_barrier
	buffer_gl0_inv
	ds_load_b64 v[78:79], v91
	ds_load_2addr_b64 v[64:67], v92 offset0:13 offset1:17
	ds_load_2addr_b64 v[72:75], v92 offset0:21 offset1:26
	;; [unrolled: 1-line block ×4, first 2 shown]
	ds_load_b64 v[80:81], v93
	ds_load_b64 v[28:29], v90
	ds_load_b64 v[82:83], v92 offset:376
                                        ; implicit-def: $vgpr56_vgpr57
	s_and_saveexec_b32 s1, s0
	s_cbranch_execz .LBB0_15
; %bb.14:
	ds_load_2addr_b64 v[48:51], v88 offset0:12 offset1:25
	ds_load_2addr_b64 v[56:59], v88 offset0:38 offset1:51
.LBB0_15:
	s_or_b32 exec_lo, exec_lo, s1
	v_add_f64 v[94:95], v[54:55], v[30:31]
	v_add_f64 v[0:1], v[52:53], -v[0:1]
	v_add_f64 v[4:5], v[40:41], -v[4:5]
	v_add_f64 v[40:41], v[54:55], v[2:3]
	v_add_f64 v[8:9], v[44:45], -v[8:9]
	v_add_f64 v[20:21], v[36:37], -v[20:21]
	;; [unrolled: 1-line block ×4, first 2 shown]
	s_waitcnt lgkmcnt(0)
	s_barrier
	buffer_gl0_inv
	v_add_f64 v[94:95], v[42:43], v[94:95]
	v_mul_f64 v[54:55], v[0:1], s[42:43]
	v_mul_f64 v[96:97], v[0:1], s[20:21]
	;; [unrolled: 1-line block ×4, first 2 shown]
	v_add_f64 v[42:43], v[42:43], v[6:7]
	v_mul_f64 v[44:45], v[4:5], s[30:31]
	v_mul_f64 v[102:103], v[4:5], s[20:21]
	;; [unrolled: 1-line block ×14, first 2 shown]
	v_add_f64 v[94:95], v[46:47], v[94:95]
	v_fma_f64 v[110:111], v[40:41], s[12:13], v[54:55]
	v_fma_f64 v[54:55], v[40:41], s[12:13], -v[54:55]
	v_fma_f64 v[114:115], v[40:41], s[10:11], v[96:97]
	v_fma_f64 v[116:117], v[40:41], s[14:15], v[98:99]
	v_fma_f64 v[96:97], v[40:41], s[10:11], -v[96:97]
	v_fma_f64 v[118:119], v[40:41], s[16:17], v[100:101]
	v_fma_f64 v[100:101], v[40:41], s[16:17], -v[100:101]
	v_fma_f64 v[98:99], v[40:41], s[14:15], -v[98:99]
	v_add_f64 v[46:47], v[10:11], v[46:47]
	v_fma_f64 v[128:129], v[42:43], s[6:7], v[44:45]
	v_fma_f64 v[44:45], v[42:43], s[6:7], -v[44:45]
	v_fma_f64 v[130:131], v[42:43], s[10:11], v[102:103]
	v_fma_f64 v[102:103], v[42:43], s[10:11], -v[102:103]
	;; [unrolled: 2-line block ×6, first 2 shown]
	v_add_f64 v[52:53], v[38:39], v[94:95]
	v_mul_f64 v[94:95], v[0:1], s[30:31]
	v_mul_f64 v[0:1], v[0:1], s[36:37]
	v_add_f64 v[42:43], v[110:111], v[30:31]
	v_add_f64 v[54:55], v[54:55], v[30:31]
	;; [unrolled: 1-line block ×6, first 2 shown]
	v_fma_f64 v[144:145], v[46:47], s[2:3], v[36:37]
	v_fma_f64 v[36:37], v[46:47], s[2:3], -v[36:37]
	v_fma_f64 v[148:149], v[46:47], s[10:11], v[122:123]
	v_fma_f64 v[122:123], v[46:47], s[10:11], -v[122:123]
	;; [unrolled: 2-line block ×4, first 2 shown]
	v_add_f64 v[52:53], v[26:27], v[52:53]
	v_fma_f64 v[112:113], v[40:41], s[6:7], -v[94:95]
	v_fma_f64 v[120:121], v[40:41], s[2:3], -v[0:1]
	v_fma_f64 v[94:95], v[40:41], s[6:7], v[94:95]
	v_fma_f64 v[0:1], v[40:41], s[2:3], v[0:1]
	v_add_f64 v[42:43], v[128:129], v[42:43]
	v_add_f64 v[44:45], v[44:45], v[54:55]
	v_add_f64 v[96:97], v[106:107], v[96:97]
	v_add_f64 v[4:5], v[4:5], v[100:101]
	v_add_f64 v[98:99], v[108:109], v[98:99]
	v_add_f64 v[26:27], v[26:27], v[34:35]
	v_mul_f64 v[108:109], v[24:25], s[34:35]
	v_fma_f64 v[128:129], v[38:39], s[2:3], -v[140:141]
	v_add_f64 v[40:41], v[14:15], v[52:53]
	v_mul_f64 v[52:53], v[8:9], s[28:29]
	v_mul_f64 v[8:9], v[8:9], s[26:27]
	v_add_f64 v[110:111], v[112:113], v[30:31]
	v_add_f64 v[112:113], v[114:115], v[30:31]
	v_add_f64 v[114:115], v[116:117], v[30:31]
	v_add_f64 v[116:117], v[118:119], v[30:31]
	v_add_f64 v[118:119], v[120:121], v[30:31]
	v_add_f64 v[94:95], v[94:95], v[30:31]
	v_add_f64 v[0:1], v[0:1], v[30:31]
	v_mul_f64 v[120:121], v[20:21], s[24:25]
	v_add_f64 v[36:37], v[36:37], v[44:45]
	v_add_f64 v[14:15], v[14:15], v[18:19]
	;; [unrolled: 1-line block ×3, first 2 shown]
	v_mul_f64 v[40:41], v[20:21], s[38:39]
	v_mul_f64 v[20:21], v[20:21], s[22:23]
	v_fma_f64 v[146:147], v[46:47], s[16:17], v[52:53]
	v_fma_f64 v[52:53], v[46:47], s[16:17], -v[52:53]
	v_fma_f64 v[154:155], v[46:47], s[14:15], v[8:9]
	v_fma_f64 v[8:9], v[46:47], s[14:15], -v[8:9]
	v_add_f64 v[46:47], v[102:103], v[110:111]
	v_add_f64 v[54:55], v[134:135], v[112:113]
	;; [unrolled: 1-line block ×7, first 2 shown]
	v_mul_f64 v[104:105], v[24:25], s[30:31]
	v_mul_f64 v[110:111], v[24:25], s[24:25]
	v_fma_f64 v[112:113], v[38:39], s[10:11], v[32:33]
	v_fma_f64 v[32:33], v[38:39], s[10:11], -v[32:33]
	v_fma_f64 v[116:117], v[38:39], s[12:13], v[120:121]
	v_fma_f64 v[118:119], v[38:39], s[12:13], -v[120:121]
	v_fma_f64 v[120:121], v[38:39], s[2:3], v[140:141]
	v_fma_f64 v[130:131], v[38:39], s[16:17], v[142:143]
	v_fma_f64 v[132:133], v[38:39], s[16:17], -v[142:143]
	v_mul_f64 v[18:19], v[12:13], s[28:29]
	v_add_f64 v[30:31], v[34:35], v[30:31]
	v_mul_f64 v[34:35], v[24:25], s[18:19]
	v_mul_f64 v[24:25], v[24:25], s[20:21]
	v_fma_f64 v[114:115], v[38:39], s[14:15], v[40:41]
	v_fma_f64 v[40:41], v[38:39], s[14:15], -v[40:41]
	v_fma_f64 v[134:135], v[38:39], s[6:7], v[20:21]
	v_fma_f64 v[20:21], v[38:39], s[6:7], -v[20:21]
	v_add_f64 v[38:39], v[144:145], v[42:43]
	v_add_f64 v[42:43], v[52:53], v[46:47]
	;; [unrolled: 1-line block ×11, first 2 shown]
	v_mul_f64 v[98:99], v[12:13], s[26:27]
	v_mul_f64 v[100:101], v[12:13], s[22:23]
	;; [unrolled: 1-line block ×3, first 2 shown]
	v_fma_f64 v[106:107], v[26:27], s[14:15], v[16:17]
	v_fma_f64 v[16:17], v[26:27], s[14:15], -v[16:17]
	v_fma_f64 v[124:125], v[26:27], s[6:7], v[104:105]
	v_fma_f64 v[104:105], v[26:27], s[6:7], -v[104:105]
	v_fma_f64 v[126:127], v[26:27], s[16:17], v[108:109]
	v_fma_f64 v[108:109], v[26:27], s[16:17], -v[108:109]
	v_fma_f64 v[136:137], v[26:27], s[12:13], v[110:111]
	v_fma_f64 v[110:111], v[26:27], s[12:13], -v[110:111]
	v_add_f64 v[32:33], v[32:33], v[36:37]
	v_add_f64 v[22:23], v[22:23], v[30:31]
	v_mul_f64 v[30:31], v[12:13], s[24:25]
	v_mul_f64 v[12:13], v[12:13], s[18:19]
	v_fma_f64 v[122:123], v[26:27], s[2:3], v[34:35]
	v_fma_f64 v[34:35], v[26:27], s[2:3], -v[34:35]
	v_fma_f64 v[138:139], v[26:27], s[10:11], v[24:25]
	v_fma_f64 v[24:25], v[26:27], s[10:11], -v[24:25]
	v_add_f64 v[26:27], v[112:113], v[38:39]
	v_add_f64 v[36:37], v[40:41], v[42:43]
	v_add_f64 v[38:39], v[120:121], v[44:45]
	v_add_f64 v[42:43], v[130:131], v[52:53]
	v_add_f64 v[44:45], v[134:135], v[54:55]
	v_add_f64 v[4:5], v[20:21], v[4:5]
	v_add_f64 v[40:41], v[128:129], v[46:47]
	v_add_f64 v[8:9], v[132:133], v[8:9]
	v_add_f64 v[20:21], v[118:119], v[96:97]
	v_add_f64 v[46:47], v[114:115], v[94:95]
	v_add_f64 v[0:1], v[116:117], v[0:1]
	v_fma_f64 v[54:55], v[14:15], s[14:15], v[98:99]
	v_fma_f64 v[94:95], v[14:15], s[14:15], -v[98:99]
	v_fma_f64 v[96:97], v[14:15], s[6:7], v[100:101]
	v_fma_f64 v[98:99], v[14:15], s[6:7], -v[100:101]
	;; [unrolled: 2-line block ×3, first 2 shown]
	v_add_f64 v[16:17], v[16:17], v[32:33]
	v_add_f64 v[10:11], v[10:11], v[22:23]
	v_fma_f64 v[22:23], v[14:15], s[16:17], v[18:19]
	v_fma_f64 v[18:19], v[14:15], s[16:17], -v[18:19]
	v_fma_f64 v[52:53], v[14:15], s[12:13], v[30:31]
	v_fma_f64 v[30:31], v[14:15], s[12:13], -v[30:31]
	v_fma_f64 v[112:113], v[14:15], s[2:3], v[12:13]
	v_fma_f64 v[12:13], v[14:15], s[2:3], -v[12:13]
	v_add_f64 v[14:15], v[106:107], v[26:27]
	v_add_f64 v[26:27], v[34:35], v[36:37]
	;; [unrolled: 1-line block ×25, first 2 shown]
	ds_store_2addr_b64 v89, v[16:17], v[22:23] offset0:4 offset1:5
	ds_store_2addr_b64 v89, v[26:27], v[4:5] offset0:6 offset1:7
	;; [unrolled: 1-line block ×4, first 2 shown]
	ds_store_b64 v89, v[0:1] offset:96
	ds_store_2addr_b64 v89, v[20:21], v[24:25] offset0:2 offset1:3
	ds_store_2addr_b64 v89, v[2:3], v[10:11] offset1:1
	s_waitcnt lgkmcnt(0)
	s_barrier
	buffer_gl0_inv
	ds_load_b64 v[32:33], v91
	ds_load_2addr_b64 v[8:11], v92 offset0:13 offset1:17
	ds_load_2addr_b64 v[16:19], v92 offset0:21 offset1:26
	;; [unrolled: 1-line block ×4, first 2 shown]
	ds_load_b64 v[30:31], v93
	ds_load_b64 v[26:27], v90
	ds_load_b64 v[34:35], v92 offset:376
                                        ; implicit-def: $vgpr4_vgpr5
	s_and_saveexec_b32 s1, s0
	s_cbranch_execz .LBB0_17
; %bb.16:
	ds_load_2addr_b64 v[0:3], v88 offset0:12 offset1:25
	ds_load_2addr_b64 v[4:7], v88 offset0:38 offset1:51
.LBB0_17:
	s_or_b32 exec_lo, exec_lo, s1
	s_and_saveexec_b32 s1, vcc_lo
	s_cbranch_execz .LBB0_20
; %bb.18:
	v_mul_i32_i24_e32 v24, 3, v87
	v_mov_b32_e32 v25, 0
	v_mul_u32_u24_e32 v36, 3, v86
	s_delay_alu instid0(VALU_DEP_2) | instskip(SKIP_1) | instid1(VALU_DEP_3)
	v_lshlrev_b64 v[37:38], 4, v[24:25]
	v_mul_i32_i24_e32 v24, 3, v85
	v_lshlrev_b32_e32 v47, 4, v36
	s_delay_alu instid0(VALU_DEP_2) | instskip(NEXT) | instid1(VALU_DEP_4)
	v_lshlrev_b64 v[93:94], 4, v[24:25]
	v_add_co_u32 v45, vcc_lo, s4, v37
	v_add_co_ci_u32_e32 v46, vcc_lo, s5, v38, vcc_lo
	s_clause 0x4
	global_load_b128 v[37:40], v47, s[4:5] offset:32
	global_load_b128 v[41:44], v47, s[4:5] offset:16
	global_load_b128 v[52:55], v47, s[4:5]
	global_load_b128 v[85:88], v[45:46], off offset:16
	global_load_b128 v[89:92], v[45:46], off
	v_add_co_u32 v105, vcc_lo, s4, v93
	v_add_co_ci_u32_e32 v106, vcc_lo, s5, v94, vcc_lo
	s_clause 0x3
	global_load_b128 v[93:96], v[45:46], off offset:32
	global_load_b128 v[97:100], v[105:106], off offset:16
	global_load_b128 v[101:104], v[105:106], off
	global_load_b128 v[105:108], v[105:106], off offset:32
	s_waitcnt vmcnt(8) lgkmcnt(4)
	v_mul_f64 v[111:112], v[12:13], v[39:40]
	s_waitcnt vmcnt(7)
	v_mul_f64 v[45:46], v[74:75], v[43:44]
	s_waitcnt vmcnt(6)
	v_mul_f64 v[109:110], v[8:9], v[54:55]
	v_mul_f64 v[43:44], v[18:19], v[43:44]
	;; [unrolled: 1-line block ×4, first 2 shown]
	s_waitcnt vmcnt(5)
	v_mul_f64 v[113:114], v[70:71], v[87:88]
	s_waitcnt vmcnt(4)
	v_mul_f64 v[115:116], v[16:17], v[91:92]
	s_waitcnt vmcnt(3) lgkmcnt(0)
	v_mul_f64 v[117:118], v[34:35], v[95:96]
	v_mul_f64 v[87:88], v[22:23], v[87:88]
	;; [unrolled: 1-line block ×4, first 2 shown]
	s_waitcnt vmcnt(2)
	v_mul_f64 v[119:120], v[68:69], v[99:100]
	s_waitcnt vmcnt(1)
	v_mul_f64 v[121:122], v[10:11], v[103:104]
	v_mul_f64 v[103:104], v[66:67], v[103:104]
	s_waitcnt vmcnt(0)
	v_mul_f64 v[123:124], v[62:63], v[107:108]
	v_mul_f64 v[99:100], v[20:21], v[99:100]
	;; [unrolled: 1-line block ×3, first 2 shown]
	v_fma_f64 v[60:61], v[60:61], v[37:38], -v[111:112]
	v_fma_f64 v[18:19], v[18:19], v[41:42], v[45:46]
	v_fma_f64 v[45:46], v[64:65], v[52:53], -v[109:110]
	v_fma_f64 v[41:42], v[74:75], v[41:42], -v[43:44]
	v_fma_f64 v[8:9], v[8:9], v[52:53], v[54:55]
	v_fma_f64 v[12:13], v[12:13], v[37:38], v[39:40]
	;; [unrolled: 1-line block ×3, first 2 shown]
	v_fma_f64 v[37:38], v[72:73], v[89:90], -v[115:116]
	v_fma_f64 v[39:40], v[82:83], v[93:94], -v[117:118]
	;; [unrolled: 1-line block ×3, first 2 shown]
	v_fma_f64 v[16:17], v[16:17], v[89:90], v[91:92]
	v_fma_f64 v[34:35], v[34:35], v[93:94], v[95:96]
	;; [unrolled: 1-line block ×3, first 2 shown]
	v_fma_f64 v[52:53], v[66:67], v[101:102], -v[121:122]
	v_fma_f64 v[10:11], v[10:11], v[101:102], v[103:104]
	v_fma_f64 v[14:15], v[14:15], v[105:106], v[123:124]
	v_fma_f64 v[54:55], v[68:69], v[97:98], -v[99:100]
	v_fma_f64 v[62:63], v[62:63], v[105:106], -v[107:108]
	v_add_f64 v[64:65], v[32:33], -v[18:19]
	v_add_f64 v[41:42], v[78:79], -v[41:42]
	;; [unrolled: 1-line block ×12, first 2 shown]
	v_fma_f64 v[70:71], v[32:33], 2.0, -v[64:65]
	v_fma_f64 v[72:73], v[78:79], 2.0, -v[41:42]
	;; [unrolled: 1-line block ×7, first 2 shown]
	v_add_f64 v[12:13], v[64:65], v[12:13]
	v_fma_f64 v[30:31], v[16:17], 2.0, -v[34:35]
	v_fma_f64 v[78:79], v[26:27], 2.0, -v[66:67]
	v_add_f64 v[14:15], v[60:61], -v[34:35]
	v_add_f64 v[16:17], v[22:23], v[39:40]
	v_fma_f64 v[54:55], v[10:11], 2.0, -v[43:44]
	v_fma_f64 v[80:81], v[28:29], 2.0, -v[68:69]
	;; [unrolled: 1-line block ×3, first 2 shown]
	v_add_f64 v[10:11], v[41:42], -v[18:19]
	v_add_f64 v[20:21], v[66:67], v[20:21]
	v_add_f64 v[18:19], v[68:69], -v[43:44]
	v_add_f64 v[28:29], v[70:71], -v[8:9]
	;; [unrolled: 1-line block ×3, first 2 shown]
	v_add_co_u32 v8, vcc_lo, s8, v76
	v_add_co_ci_u32_e32 v9, vcc_lo, s9, v77, vcc_lo
	v_add_f64 v[32:33], v[45:46], -v[30:31]
	v_add_f64 v[30:31], v[74:75], -v[37:38]
	v_fma_f64 v[43:44], v[64:65], 2.0, -v[12:13]
	v_add_f64 v[39:40], v[78:79], -v[54:55]
	v_fma_f64 v[54:55], v[22:23], 2.0, -v[16:17]
	v_add_f64 v[37:38], v[80:81], -v[52:53]
	v_fma_f64 v[52:53], v[60:61], 2.0, -v[14:15]
	v_fma_f64 v[62:63], v[66:67], 2.0, -v[20:21]
	v_fma_f64 v[60:61], v[68:69], 2.0, -v[18:19]
	;; [unrolled: 1-line block ×3, first 2 shown]
	v_add_co_u32 v22, vcc_lo, v8, v84
	v_add_co_ci_u32_e32 v23, vcc_lo, 0, v9, vcc_lo
	v_fma_f64 v[66:67], v[70:71], 2.0, -v[28:29]
	v_fma_f64 v[64:65], v[72:73], 2.0, -v[26:27]
	;; [unrolled: 1-line block ×6, first 2 shown]
	s_clause 0xb
	global_store_b128 v[22:23], v[10:13], off offset:624
	global_store_b128 v[22:23], v[30:33], off offset:544
	;; [unrolled: 1-line block ×8, first 2 shown]
	global_store_b128 v[22:23], v[64:67], off
	global_store_b128 v[22:23], v[72:75], off offset:64
	global_store_b128 v[22:23], v[18:21], off offset:688
	;; [unrolled: 1-line block ×3, first 2 shown]
	s_and_b32 exec_lo, exec_lo, s0
	s_cbranch_execz .LBB0_20
; %bb.19:
	v_add_nc_u32_e32 v10, -3, v36
	s_delay_alu instid0(VALU_DEP_1) | instskip(NEXT) | instid1(VALU_DEP_1)
	v_cndmask_b32_e64 v24, v10, 36, s0
	v_lshlrev_b64 v[10:11], 4, v[24:25]
	s_delay_alu instid0(VALU_DEP_1) | instskip(NEXT) | instid1(VALU_DEP_2)
	v_add_co_u32 v18, vcc_lo, s4, v10
	v_add_co_ci_u32_e32 v19, vcc_lo, s5, v11, vcc_lo
	s_clause 0x2
	global_load_b128 v[10:13], v[18:19], off
	global_load_b128 v[14:17], v[18:19], off offset:16
	global_load_b128 v[18:21], v[18:19], off offset:32
	s_waitcnt vmcnt(2)
	v_mul_f64 v[22:23], v[2:3], v[12:13]
	v_mul_f64 v[12:13], v[50:51], v[12:13]
	s_waitcnt vmcnt(1)
	v_mul_f64 v[24:25], v[4:5], v[16:17]
	v_mul_f64 v[16:17], v[56:57], v[16:17]
	;; [unrolled: 3-line block ×3, first 2 shown]
	v_fma_f64 v[22:23], v[50:51], v[10:11], -v[22:23]
	v_fma_f64 v[2:3], v[2:3], v[10:11], v[12:13]
	v_fma_f64 v[10:11], v[56:57], v[14:15], -v[24:25]
	v_fma_f64 v[4:5], v[4:5], v[14:15], v[16:17]
	;; [unrolled: 2-line block ×3, first 2 shown]
	s_delay_alu instid0(VALU_DEP_4) | instskip(NEXT) | instid1(VALU_DEP_4)
	v_add_f64 v[10:11], v[48:49], -v[10:11]
	v_add_f64 v[18:19], v[0:1], -v[4:5]
	s_delay_alu instid0(VALU_DEP_4) | instskip(NEXT) | instid1(VALU_DEP_4)
	v_add_f64 v[12:13], v[22:23], -v[12:13]
	v_add_f64 v[4:5], v[2:3], -v[6:7]
	s_delay_alu instid0(VALU_DEP_4) | instskip(NEXT) | instid1(VALU_DEP_4)
	v_fma_f64 v[14:15], v[48:49], 2.0, -v[10:11]
	v_fma_f64 v[16:17], v[0:1], 2.0, -v[18:19]
	s_delay_alu instid0(VALU_DEP_4) | instskip(NEXT) | instid1(VALU_DEP_4)
	v_fma_f64 v[6:7], v[22:23], 2.0, -v[12:13]
	v_fma_f64 v[2:3], v[2:3], 2.0, -v[4:5]
	v_add_f64 v[0:1], v[10:11], -v[4:5]
	s_delay_alu instid0(VALU_DEP_3) | instskip(NEXT) | instid1(VALU_DEP_3)
	v_add_f64 v[4:5], v[14:15], -v[6:7]
	v_add_f64 v[6:7], v[16:17], -v[2:3]
	v_add_f64 v[2:3], v[18:19], v[12:13]
	s_delay_alu instid0(VALU_DEP_4) | instskip(NEXT) | instid1(VALU_DEP_4)
	v_fma_f64 v[10:11], v[10:11], 2.0, -v[0:1]
	v_fma_f64 v[14:15], v[14:15], 2.0, -v[4:5]
	s_delay_alu instid0(VALU_DEP_4) | instskip(NEXT) | instid1(VALU_DEP_4)
	v_fma_f64 v[16:17], v[16:17], 2.0, -v[6:7]
	v_fma_f64 v[12:13], v[18:19], 2.0, -v[2:3]
	s_clause 0x3
	global_store_b128 v[8:9], v[14:17], off offset:192
	global_store_b128 v[8:9], v[10:13], off offset:400
	;; [unrolled: 1-line block ×4, first 2 shown]
.LBB0_20:
	s_nop 0
	s_sendmsg sendmsg(MSG_DEALLOC_VGPRS)
	s_endpgm
	.section	.rodata,"a",@progbits
	.p2align	6, 0x0
	.amdhsa_kernel fft_rtc_fwd_len52_factors_13_4_wgs_64_tpt_4_halfLds_dp_ip_CI_unitstride_sbrr_dirReg
		.amdhsa_group_segment_fixed_size 0
		.amdhsa_private_segment_fixed_size 0
		.amdhsa_kernarg_size 88
		.amdhsa_user_sgpr_count 15
		.amdhsa_user_sgpr_dispatch_ptr 0
		.amdhsa_user_sgpr_queue_ptr 0
		.amdhsa_user_sgpr_kernarg_segment_ptr 1
		.amdhsa_user_sgpr_dispatch_id 0
		.amdhsa_user_sgpr_private_segment_size 0
		.amdhsa_wavefront_size32 1
		.amdhsa_uses_dynamic_stack 0
		.amdhsa_enable_private_segment 0
		.amdhsa_system_sgpr_workgroup_id_x 1
		.amdhsa_system_sgpr_workgroup_id_y 0
		.amdhsa_system_sgpr_workgroup_id_z 0
		.amdhsa_system_sgpr_workgroup_info 0
		.amdhsa_system_vgpr_workitem_id 0
		.amdhsa_next_free_vgpr 156
		.amdhsa_next_free_sgpr 44
		.amdhsa_reserve_vcc 1
		.amdhsa_float_round_mode_32 0
		.amdhsa_float_round_mode_16_64 0
		.amdhsa_float_denorm_mode_32 3
		.amdhsa_float_denorm_mode_16_64 3
		.amdhsa_dx10_clamp 1
		.amdhsa_ieee_mode 1
		.amdhsa_fp16_overflow 0
		.amdhsa_workgroup_processor_mode 1
		.amdhsa_memory_ordered 1
		.amdhsa_forward_progress 0
		.amdhsa_shared_vgpr_count 0
		.amdhsa_exception_fp_ieee_invalid_op 0
		.amdhsa_exception_fp_denorm_src 0
		.amdhsa_exception_fp_ieee_div_zero 0
		.amdhsa_exception_fp_ieee_overflow 0
		.amdhsa_exception_fp_ieee_underflow 0
		.amdhsa_exception_fp_ieee_inexact 0
		.amdhsa_exception_int_div_zero 0
	.end_amdhsa_kernel
	.text
.Lfunc_end0:
	.size	fft_rtc_fwd_len52_factors_13_4_wgs_64_tpt_4_halfLds_dp_ip_CI_unitstride_sbrr_dirReg, .Lfunc_end0-fft_rtc_fwd_len52_factors_13_4_wgs_64_tpt_4_halfLds_dp_ip_CI_unitstride_sbrr_dirReg
                                        ; -- End function
	.section	.AMDGPU.csdata,"",@progbits
; Kernel info:
; codeLenInByte = 6832
; NumSgprs: 46
; NumVgprs: 156
; ScratchSize: 0
; MemoryBound: 1
; FloatMode: 240
; IeeeMode: 1
; LDSByteSize: 0 bytes/workgroup (compile time only)
; SGPRBlocks: 5
; VGPRBlocks: 19
; NumSGPRsForWavesPerEU: 46
; NumVGPRsForWavesPerEU: 156
; Occupancy: 9
; WaveLimiterHint : 1
; COMPUTE_PGM_RSRC2:SCRATCH_EN: 0
; COMPUTE_PGM_RSRC2:USER_SGPR: 15
; COMPUTE_PGM_RSRC2:TRAP_HANDLER: 0
; COMPUTE_PGM_RSRC2:TGID_X_EN: 1
; COMPUTE_PGM_RSRC2:TGID_Y_EN: 0
; COMPUTE_PGM_RSRC2:TGID_Z_EN: 0
; COMPUTE_PGM_RSRC2:TIDIG_COMP_CNT: 0
	.text
	.p2alignl 7, 3214868480
	.fill 96, 4, 3214868480
	.type	__hip_cuid_1d85b2467cb3917c,@object ; @__hip_cuid_1d85b2467cb3917c
	.section	.bss,"aw",@nobits
	.globl	__hip_cuid_1d85b2467cb3917c
__hip_cuid_1d85b2467cb3917c:
	.byte	0                               ; 0x0
	.size	__hip_cuid_1d85b2467cb3917c, 1

	.ident	"AMD clang version 19.0.0git (https://github.com/RadeonOpenCompute/llvm-project roc-6.4.0 25133 c7fe45cf4b819c5991fe208aaa96edf142730f1d)"
	.section	".note.GNU-stack","",@progbits
	.addrsig
	.addrsig_sym __hip_cuid_1d85b2467cb3917c
	.amdgpu_metadata
---
amdhsa.kernels:
  - .args:
      - .actual_access:  read_only
        .address_space:  global
        .offset:         0
        .size:           8
        .value_kind:     global_buffer
      - .offset:         8
        .size:           8
        .value_kind:     by_value
      - .actual_access:  read_only
        .address_space:  global
        .offset:         16
        .size:           8
        .value_kind:     global_buffer
      - .actual_access:  read_only
        .address_space:  global
        .offset:         24
        .size:           8
        .value_kind:     global_buffer
      - .offset:         32
        .size:           8
        .value_kind:     by_value
      - .actual_access:  read_only
        .address_space:  global
        .offset:         40
        .size:           8
        .value_kind:     global_buffer
      - .actual_access:  read_only
        .address_space:  global
        .offset:         48
        .size:           8
        .value_kind:     global_buffer
      - .offset:         56
        .size:           4
        .value_kind:     by_value
      - .actual_access:  read_only
        .address_space:  global
        .offset:         64
        .size:           8
        .value_kind:     global_buffer
      - .actual_access:  read_only
        .address_space:  global
        .offset:         72
        .size:           8
        .value_kind:     global_buffer
      - .address_space:  global
        .offset:         80
        .size:           8
        .value_kind:     global_buffer
    .group_segment_fixed_size: 0
    .kernarg_segment_align: 8
    .kernarg_segment_size: 88
    .language:       OpenCL C
    .language_version:
      - 2
      - 0
    .max_flat_workgroup_size: 64
    .name:           fft_rtc_fwd_len52_factors_13_4_wgs_64_tpt_4_halfLds_dp_ip_CI_unitstride_sbrr_dirReg
    .private_segment_fixed_size: 0
    .sgpr_count:     46
    .sgpr_spill_count: 0
    .symbol:         fft_rtc_fwd_len52_factors_13_4_wgs_64_tpt_4_halfLds_dp_ip_CI_unitstride_sbrr_dirReg.kd
    .uniform_work_group_size: 1
    .uses_dynamic_stack: false
    .vgpr_count:     156
    .vgpr_spill_count: 0
    .wavefront_size: 32
    .workgroup_processor_mode: 1
amdhsa.target:   amdgcn-amd-amdhsa--gfx1100
amdhsa.version:
  - 1
  - 2
...

	.end_amdgpu_metadata
